;; amdgpu-corpus repo=ROCm/rocFFT kind=compiled arch=gfx906 opt=O3
	.text
	.amdgcn_target "amdgcn-amd-amdhsa--gfx906"
	.amdhsa_code_object_version 6
	.protected	fft_rtc_back_len672_factors_2_2_2_2_2_3_7_wgs_56_tpt_56_halfLds_half_op_CI_CI_unitstride_sbrr_dirReg ; -- Begin function fft_rtc_back_len672_factors_2_2_2_2_2_3_7_wgs_56_tpt_56_halfLds_half_op_CI_CI_unitstride_sbrr_dirReg
	.globl	fft_rtc_back_len672_factors_2_2_2_2_2_3_7_wgs_56_tpt_56_halfLds_half_op_CI_CI_unitstride_sbrr_dirReg
	.p2align	8
	.type	fft_rtc_back_len672_factors_2_2_2_2_2_3_7_wgs_56_tpt_56_halfLds_half_op_CI_CI_unitstride_sbrr_dirReg,@function
fft_rtc_back_len672_factors_2_2_2_2_2_3_7_wgs_56_tpt_56_halfLds_half_op_CI_CI_unitstride_sbrr_dirReg: ; @fft_rtc_back_len672_factors_2_2_2_2_2_3_7_wgs_56_tpt_56_halfLds_half_op_CI_CI_unitstride_sbrr_dirReg
; %bb.0:
	s_load_dwordx4 s[12:15], s[4:5], 0x58
	s_load_dwordx4 s[8:11], s[4:5], 0x0
	;; [unrolled: 1-line block ×3, first 2 shown]
	v_mul_u32_u24_e32 v1, 0x493, v0
	v_mov_b32_e32 v7, 0
	v_mov_b32_e32 v5, 0
	s_waitcnt lgkmcnt(0)
	v_cmp_lt_u64_e64 s[0:1], s[10:11], 2
	v_add_u32_sdwa v9, s6, v1 dst_sel:DWORD dst_unused:UNUSED_PAD src0_sel:DWORD src1_sel:WORD_1
	v_mov_b32_e32 v10, v7
	s_and_b64 vcc, exec, s[0:1]
	v_mov_b32_e32 v6, 0
	s_cbranch_vccnz .LBB0_8
; %bb.1:
	s_load_dwordx2 s[0:1], s[4:5], 0x10
	s_add_u32 s2, s18, 8
	s_addc_u32 s3, s19, 0
	s_add_u32 s6, s16, 8
	s_addc_u32 s7, s17, 0
	v_mov_b32_e32 v5, 0
	s_waitcnt lgkmcnt(0)
	s_add_u32 s20, s0, 8
	v_mov_b32_e32 v6, 0
	v_mov_b32_e32 v1, v5
	s_addc_u32 s21, s1, 0
	s_mov_b64 s[22:23], 1
	v_mov_b32_e32 v2, v6
.LBB0_2:                                ; =>This Inner Loop Header: Depth=1
	s_load_dwordx2 s[24:25], s[20:21], 0x0
                                        ; implicit-def: $vgpr3_vgpr4
	s_waitcnt lgkmcnt(0)
	v_or_b32_e32 v8, s25, v10
	v_cmp_ne_u64_e32 vcc, 0, v[7:8]
	s_and_saveexec_b64 s[0:1], vcc
	s_xor_b64 s[26:27], exec, s[0:1]
	s_cbranch_execz .LBB0_4
; %bb.3:                                ;   in Loop: Header=BB0_2 Depth=1
	v_cvt_f32_u32_e32 v3, s24
	v_cvt_f32_u32_e32 v4, s25
	s_sub_u32 s0, 0, s24
	s_subb_u32 s1, 0, s25
	v_mac_f32_e32 v3, 0x4f800000, v4
	v_rcp_f32_e32 v3, v3
	v_mul_f32_e32 v3, 0x5f7ffffc, v3
	v_mul_f32_e32 v4, 0x2f800000, v3
	v_trunc_f32_e32 v4, v4
	v_mac_f32_e32 v3, 0xcf800000, v4
	v_cvt_u32_f32_e32 v4, v4
	v_cvt_u32_f32_e32 v3, v3
	v_mul_lo_u32 v8, s0, v4
	v_mul_hi_u32 v11, s0, v3
	v_mul_lo_u32 v13, s1, v3
	v_mul_lo_u32 v12, s0, v3
	v_add_u32_e32 v8, v11, v8
	v_add_u32_e32 v8, v8, v13
	v_mul_hi_u32 v11, v3, v12
	v_mul_lo_u32 v13, v3, v8
	v_mul_hi_u32 v15, v3, v8
	v_mul_hi_u32 v14, v4, v12
	v_mul_lo_u32 v12, v4, v12
	v_mul_hi_u32 v16, v4, v8
	v_add_co_u32_e32 v11, vcc, v11, v13
	v_addc_co_u32_e32 v13, vcc, 0, v15, vcc
	v_mul_lo_u32 v8, v4, v8
	v_add_co_u32_e32 v11, vcc, v11, v12
	v_addc_co_u32_e32 v11, vcc, v13, v14, vcc
	v_addc_co_u32_e32 v12, vcc, 0, v16, vcc
	v_add_co_u32_e32 v8, vcc, v11, v8
	v_addc_co_u32_e32 v11, vcc, 0, v12, vcc
	v_add_co_u32_e32 v3, vcc, v3, v8
	v_addc_co_u32_e32 v4, vcc, v4, v11, vcc
	v_mul_lo_u32 v8, s0, v4
	v_mul_hi_u32 v11, s0, v3
	v_mul_lo_u32 v12, s1, v3
	v_mul_lo_u32 v13, s0, v3
	v_add_u32_e32 v8, v11, v8
	v_add_u32_e32 v8, v8, v12
	v_mul_lo_u32 v14, v3, v8
	v_mul_hi_u32 v15, v3, v13
	v_mul_hi_u32 v16, v3, v8
	v_mul_hi_u32 v12, v4, v13
	v_mul_lo_u32 v13, v4, v13
	v_mul_hi_u32 v11, v4, v8
	v_add_co_u32_e32 v14, vcc, v15, v14
	v_addc_co_u32_e32 v15, vcc, 0, v16, vcc
	v_mul_lo_u32 v8, v4, v8
	v_add_co_u32_e32 v13, vcc, v14, v13
	v_addc_co_u32_e32 v12, vcc, v15, v12, vcc
	v_addc_co_u32_e32 v11, vcc, 0, v11, vcc
	v_add_co_u32_e32 v8, vcc, v12, v8
	v_addc_co_u32_e32 v11, vcc, 0, v11, vcc
	v_add_co_u32_e32 v8, vcc, v3, v8
	v_addc_co_u32_e32 v11, vcc, v4, v11, vcc
	v_mad_u64_u32 v[3:4], s[0:1], v9, v11, 0
	v_mul_hi_u32 v12, v9, v8
	v_add_co_u32_e32 v13, vcc, v12, v3
	v_addc_co_u32_e32 v14, vcc, 0, v4, vcc
	v_mad_u64_u32 v[3:4], s[0:1], v10, v8, 0
	v_mad_u64_u32 v[11:12], s[0:1], v10, v11, 0
	v_add_co_u32_e32 v3, vcc, v13, v3
	v_addc_co_u32_e32 v3, vcc, v14, v4, vcc
	v_addc_co_u32_e32 v4, vcc, 0, v12, vcc
	v_add_co_u32_e32 v8, vcc, v3, v11
	v_addc_co_u32_e32 v11, vcc, 0, v4, vcc
	v_mul_lo_u32 v12, s25, v8
	v_mul_lo_u32 v13, s24, v11
	v_mad_u64_u32 v[3:4], s[0:1], s24, v8, 0
	v_add3_u32 v4, v4, v13, v12
	v_sub_u32_e32 v12, v10, v4
	v_mov_b32_e32 v13, s25
	v_sub_co_u32_e32 v3, vcc, v9, v3
	v_subb_co_u32_e64 v12, s[0:1], v12, v13, vcc
	v_subrev_co_u32_e64 v13, s[0:1], s24, v3
	v_subbrev_co_u32_e64 v12, s[0:1], 0, v12, s[0:1]
	v_cmp_le_u32_e64 s[0:1], s25, v12
	v_cndmask_b32_e64 v14, 0, -1, s[0:1]
	v_cmp_le_u32_e64 s[0:1], s24, v13
	v_cndmask_b32_e64 v13, 0, -1, s[0:1]
	v_cmp_eq_u32_e64 s[0:1], s25, v12
	v_cndmask_b32_e64 v12, v14, v13, s[0:1]
	v_add_co_u32_e64 v13, s[0:1], 2, v8
	v_addc_co_u32_e64 v14, s[0:1], 0, v11, s[0:1]
	v_add_co_u32_e64 v15, s[0:1], 1, v8
	v_addc_co_u32_e64 v16, s[0:1], 0, v11, s[0:1]
	v_subb_co_u32_e32 v4, vcc, v10, v4, vcc
	v_cmp_ne_u32_e64 s[0:1], 0, v12
	v_cmp_le_u32_e32 vcc, s25, v4
	v_cndmask_b32_e64 v12, v16, v14, s[0:1]
	v_cndmask_b32_e64 v14, 0, -1, vcc
	v_cmp_le_u32_e32 vcc, s24, v3
	v_cndmask_b32_e64 v3, 0, -1, vcc
	v_cmp_eq_u32_e32 vcc, s25, v4
	v_cndmask_b32_e32 v3, v14, v3, vcc
	v_cmp_ne_u32_e32 vcc, 0, v3
	v_cndmask_b32_e64 v3, v15, v13, s[0:1]
	v_cndmask_b32_e32 v4, v11, v12, vcc
	v_cndmask_b32_e32 v3, v8, v3, vcc
.LBB0_4:                                ;   in Loop: Header=BB0_2 Depth=1
	s_andn2_saveexec_b64 s[0:1], s[26:27]
	s_cbranch_execz .LBB0_6
; %bb.5:                                ;   in Loop: Header=BB0_2 Depth=1
	v_cvt_f32_u32_e32 v3, s24
	s_sub_i32 s26, 0, s24
	v_rcp_iflag_f32_e32 v3, v3
	v_mul_f32_e32 v3, 0x4f7ffffe, v3
	v_cvt_u32_f32_e32 v3, v3
	v_mul_lo_u32 v4, s26, v3
	v_mul_hi_u32 v4, v3, v4
	v_add_u32_e32 v3, v3, v4
	v_mul_hi_u32 v3, v9, v3
	v_mul_lo_u32 v4, v3, s24
	v_add_u32_e32 v8, 1, v3
	v_sub_u32_e32 v4, v9, v4
	v_subrev_u32_e32 v11, s24, v4
	v_cmp_le_u32_e32 vcc, s24, v4
	v_cndmask_b32_e32 v4, v4, v11, vcc
	v_cndmask_b32_e32 v3, v3, v8, vcc
	v_add_u32_e32 v8, 1, v3
	v_cmp_le_u32_e32 vcc, s24, v4
	v_cndmask_b32_e32 v3, v3, v8, vcc
	v_mov_b32_e32 v4, v7
.LBB0_6:                                ;   in Loop: Header=BB0_2 Depth=1
	s_or_b64 exec, exec, s[0:1]
	v_mul_lo_u32 v8, v4, s24
	v_mul_lo_u32 v13, v3, s25
	v_mad_u64_u32 v[11:12], s[0:1], v3, s24, 0
	s_load_dwordx2 s[0:1], s[6:7], 0x0
	s_load_dwordx2 s[24:25], s[2:3], 0x0
	v_add3_u32 v8, v12, v13, v8
	v_sub_co_u32_e32 v9, vcc, v9, v11
	v_subb_co_u32_e32 v8, vcc, v10, v8, vcc
	s_waitcnt lgkmcnt(0)
	v_mul_lo_u32 v10, s0, v8
	v_mul_lo_u32 v11, s1, v9
	v_mad_u64_u32 v[5:6], s[0:1], s0, v9, v[5:6]
	v_mul_lo_u32 v8, s24, v8
	v_mul_lo_u32 v12, s25, v9
	v_mad_u64_u32 v[1:2], s[0:1], s24, v9, v[1:2]
	s_add_u32 s22, s22, 1
	s_addc_u32 s23, s23, 0
	s_add_u32 s2, s2, 8
	v_add3_u32 v2, v12, v2, v8
	s_addc_u32 s3, s3, 0
	v_mov_b32_e32 v8, s10
	s_add_u32 s6, s6, 8
	v_mov_b32_e32 v9, s11
	s_addc_u32 s7, s7, 0
	v_cmp_ge_u64_e32 vcc, s[22:23], v[8:9]
	s_add_u32 s20, s20, 8
	v_add3_u32 v6, v11, v6, v10
	s_addc_u32 s21, s21, 0
	s_cbranch_vccnz .LBB0_9
; %bb.7:                                ;   in Loop: Header=BB0_2 Depth=1
	v_mov_b32_e32 v10, v4
	v_mov_b32_e32 v9, v3
	s_branch .LBB0_2
.LBB0_8:
	v_mov_b32_e32 v1, v5
	v_mov_b32_e32 v3, v9
	;; [unrolled: 1-line block ×4, first 2 shown]
.LBB0_9:
	s_load_dwordx2 s[0:1], s[4:5], 0x28
	s_lshl_b64 s[6:7], s[10:11], 3
	s_add_u32 s2, s18, s6
	s_addc_u32 s3, s19, s7
                                        ; implicit-def: $sgpr10
                                        ; implicit-def: $vgpr7
	s_waitcnt lgkmcnt(0)
	v_cmp_gt_u64_e32 vcc, s[0:1], v[3:4]
	v_cmp_le_u64_e64 s[0:1], s[0:1], v[3:4]
	s_and_saveexec_b64 s[4:5], s[0:1]
	s_xor_b64 s[0:1], exec, s[4:5]
; %bb.10:
	s_mov_b32 s4, 0x4924925
	v_mul_hi_u32 v5, v0, s4
	s_mov_b32 s10, 0
	v_mul_u32_u24_e32 v5, 56, v5
	v_sub_u32_e32 v7, v0, v5
                                        ; implicit-def: $vgpr0
                                        ; implicit-def: $vgpr5_vgpr6
; %bb.11:
	s_or_saveexec_b64 s[4:5], s[0:1]
	v_mov_b32_e32 v9, s10
	v_mov_b32_e32 v11, s10
	;; [unrolled: 1-line block ×6, first 2 shown]
                                        ; implicit-def: $vgpr21
                                        ; implicit-def: $vgpr8
                                        ; implicit-def: $vgpr20
                                        ; implicit-def: $vgpr10
                                        ; implicit-def: $vgpr19
                                        ; implicit-def: $vgpr25
                                        ; implicit-def: $vgpr17
                                        ; implicit-def: $vgpr23
                                        ; implicit-def: $vgpr16
                                        ; implicit-def: $vgpr22
                                        ; implicit-def: $vgpr15
                                        ; implicit-def: $vgpr24
	s_xor_b64 exec, exec, s[4:5]
	s_cbranch_execz .LBB0_13
; %bb.12:
	s_add_u32 s0, s16, s6
	s_addc_u32 s1, s17, s7
	s_load_dwordx2 s[0:1], s[0:1], 0x0
	s_mov_b32 s6, 0x4924925
	v_mul_hi_u32 v7, v0, s6
	v_lshlrev_b64 v[5:6], 2, v[5:6]
	s_waitcnt lgkmcnt(0)
	v_mul_lo_u32 v10, s1, v3
	v_mul_lo_u32 v11, s0, v4
	v_mad_u64_u32 v[8:9], s[0:1], s0, v3, 0
	v_mul_u32_u24_e32 v7, 56, v7
	v_sub_u32_e32 v7, v0, v7
	v_add3_u32 v9, v9, v11, v10
	v_lshlrev_b64 v[8:9], 2, v[8:9]
	v_mov_b32_e32 v0, s13
	v_add_co_u32_e64 v8, s[0:1], s12, v8
	v_addc_co_u32_e64 v0, s[0:1], v0, v9, s[0:1]
	v_add_co_u32_e64 v5, s[0:1], v8, v5
	v_addc_co_u32_e64 v0, s[0:1], v0, v6, s[0:1]
	v_lshlrev_b32_e32 v6, 2, v7
	v_add_co_u32_e64 v5, s[0:1], v5, v6
	v_addc_co_u32_e64 v6, s[0:1], 0, v0, s[0:1]
	global_load_dword v8, v[5:6], off offset:1344
	global_load_dword v10, v[5:6], off offset:1568
	global_load_dword v9, v[5:6], off
	global_load_dword v11, v[5:6], off offset:224
	global_load_dword v12, v[5:6], off offset:448
	;; [unrolled: 1-line block ×9, first 2 shown]
	s_waitcnt vmcnt(11)
	v_lshrrev_b32_e32 v21, 16, v8
	s_waitcnt vmcnt(10)
	v_lshrrev_b32_e32 v20, 16, v10
	;; [unrolled: 2-line block ×6, first 2 shown]
.LBB0_13:
	s_or_b64 exec, exec, s[4:5]
	v_sub_f16_e32 v0, v9, v8
	v_fma_f16 v5, v9, 2.0, -v0
	v_sub_f16_e32 v6, v11, v10
	v_fma_f16 v8, v11, 2.0, -v6
	v_sub_f16_e32 v10, v12, v25
	v_pack_b32_f16 v0, v5, v0
	v_lshl_add_u32 v28, v7, 2, 0
	v_add_u32_e32 v5, 56, v7
	v_fma_f16 v25, v12, 2.0, -v10
	v_sub_f16_e32 v23, v13, v23
	ds_write_b32 v28, v0
	v_pack_b32_f16 v0, v8, v6
	v_lshl_add_u32 v29, v5, 2, 0
	v_add_u32_e32 v8, 0x70, v7
	v_fma_f16 v26, v13, 2.0, -v23
	v_sub_f16_e32 v22, v14, v22
	ds_write_b32 v29, v0
	v_pack_b32_f16 v0, v25, v10
	v_lshl_add_u32 v25, v8, 2, 0
	v_add_u32_e32 v6, 0xa8, v7
	v_fma_f16 v27, v14, 2.0, -v22
	ds_write_b32 v25, v0
	v_pack_b32_f16 v0, v26, v23
	v_lshl_add_u32 v23, v6, 2, 0
	v_add_u32_e32 v26, 0xe0, v7
	s_waitcnt vmcnt(0)
	v_sub_f16_e32 v24, v18, v24
	ds_write_b32 v23, v0
	v_pack_b32_f16 v0, v27, v22
	v_lshl_add_u32 v22, v26, 2, 0
	ds_write_b32 v22, v0
	v_fma_f16 v0, v18, 2.0, -v24
	v_add_u32_e32 v10, 0x118, v7
	v_pack_b32_f16 v0, v0, v24
	v_lshl_add_u32 v24, v10, 2, 0
	ds_write_b32 v24, v0
	v_lshrrev_b32_e32 v0, 16, v9
	v_sub_f16_e32 v9, v0, v21
	v_lshrrev_b32_e32 v11, 16, v11
	v_fma_f16 v0, v0, 2.0, -v9
	v_sub_f16_e32 v20, v11, v20
	v_pack_b32_f16 v21, v0, v9
	v_lshlrev_b32_e32 v9, 1, v7
	v_fma_f16 v11, v11, 2.0, -v20
	v_sub_u32_e32 v0, v28, v9
	v_pack_b32_f16 v11, v11, v20
	s_load_dwordx2 s[2:3], s[2:3], 0x0
	s_waitcnt lgkmcnt(0)
	; wave barrier
	s_waitcnt lgkmcnt(0)
	ds_read_u16 v27, v0
	ds_read_u16 v30, v0 offset:112
	ds_read_u16 v31, v0 offset:224
	;; [unrolled: 1-line block ×11, first 2 shown]
	s_waitcnt lgkmcnt(0)
	; wave barrier
	s_waitcnt lgkmcnt(0)
	ds_write_b32 v29, v11
	v_lshrrev_b32_e32 v11, 16, v12
	v_sub_f16_e32 v12, v11, v19
	v_fma_f16 v11, v11, 2.0, -v12
	v_pack_b32_f16 v11, v11, v12
	ds_write_b32 v25, v11
	v_lshrrev_b32_e32 v11, 16, v13
	v_sub_f16_e32 v12, v11, v17
	v_fma_f16 v11, v11, 2.0, -v12
	v_pack_b32_f16 v11, v11, v12
	;; [unrolled: 5-line block ×4, first 2 shown]
	v_and_b32_e32 v16, 1, v7
	ds_write_b32 v24, v11
	v_lshlrev_b32_e32 v11, 2, v16
	ds_write_b32 v28, v21
	s_waitcnt lgkmcnt(0)
	; wave barrier
	s_waitcnt lgkmcnt(0)
	global_load_dword v11, v11, s[8:9]
	ds_read_u16 v12, v0 offset:672
	ds_read_u16 v13, v0 offset:784
	;; [unrolled: 1-line block ×4, first 2 shown]
	s_movk_i32 s0, 0x7c
	v_and_b32_e32 v46, 31, v6
	s_mov_b32 s6, 0xbaee
	s_movk_i32 s7, 0x3aee
	s_waitcnt vmcnt(0)
	v_mul_f16_sdwa v15, v35, v11 dst_sel:DWORD dst_unused:UNUSED_PAD src0_sel:DWORD src1_sel:WORD_1
	s_waitcnt lgkmcnt(3)
	v_fma_f16 v18, v12, v11, -v15
	v_mul_f16_sdwa v15, v34, v11 dst_sel:DWORD dst_unused:UNUSED_PAD src0_sel:DWORD src1_sel:WORD_1
	v_mul_f16_sdwa v14, v12, v11 dst_sel:DWORD dst_unused:UNUSED_PAD src0_sel:DWORD src1_sel:WORD_1
	s_waitcnt lgkmcnt(2)
	v_mul_f16_sdwa v12, v13, v11 dst_sel:DWORD dst_unused:UNUSED_PAD src0_sel:DWORD src1_sel:WORD_1
	v_fma_f16 v20, v13, v11, -v15
	ds_read_u16 v13, v0 offset:1008
	ds_read_u16 v15, v0 offset:1120
	ds_read_u16 v21, v0 offset:1232
	v_mul_f16_sdwa v23, v37, v11 dst_sel:DWORD dst_unused:UNUSED_PAD src0_sel:DWORD src1_sel:WORD_1
	v_mul_f16_sdwa v24, v38, v11 dst_sel:DWORD dst_unused:UNUSED_PAD src0_sel:DWORD src1_sel:WORD_1
	s_waitcnt lgkmcnt(3)
	v_mul_f16_sdwa v22, v19, v11 dst_sel:DWORD dst_unused:UNUSED_PAD src0_sel:DWORD src1_sel:WORD_1
	v_fma_f16 v19, v19, v11, -v23
	s_waitcnt lgkmcnt(2)
	v_mul_f16_sdwa v23, v13, v11 dst_sel:DWORD dst_unused:UNUSED_PAD src0_sel:DWORD src1_sel:WORD_1
	v_fma_f16 v24, v13, v11, -v24
	s_waitcnt lgkmcnt(1)
	v_mul_f16_sdwa v13, v15, v11 dst_sel:DWORD dst_unused:UNUSED_PAD src0_sel:DWORD src1_sel:WORD_1
	v_fma_f16 v25, v39, v11, v13
	v_mul_f16_sdwa v13, v39, v11 dst_sel:DWORD dst_unused:UNUSED_PAD src0_sel:DWORD src1_sel:WORD_1
	v_fma_f16 v28, v15, v11, -v13
	s_waitcnt lgkmcnt(0)
	v_mul_f16_sdwa v13, v21, v11 dst_sel:DWORD dst_unused:UNUSED_PAD src0_sel:DWORD src1_sel:WORD_1
	v_fma_f16 v14, v35, v11, v14
	v_fma_f16 v15, v40, v11, v13
	v_mul_f16_sdwa v13, v40, v11 dst_sel:DWORD dst_unused:UNUSED_PAD src0_sel:DWORD src1_sel:WORD_1
	v_fma_f16 v12, v34, v11, v12
	v_fma_f16 v22, v37, v11, v22
	;; [unrolled: 1-line block ×3, first 2 shown]
	v_fma_f16 v21, v21, v11, -v13
	v_sub_f16_e32 v11, v27, v14
	v_and_or_b32 v14, v9, s0, v16
	v_fma_f16 v13, v27, 2.0, -v11
	v_lshl_add_u32 v38, v14, 1, 0
	ds_read_u16 v27, v0
	ds_read_u16 v29, v0 offset:112
	ds_read_u16 v34, v0 offset:224
	;; [unrolled: 1-line block ×4, first 2 shown]
	s_waitcnt lgkmcnt(0)
	; wave barrier
	s_waitcnt lgkmcnt(0)
	ds_write_b16 v38, v13
	ds_write_b16 v38, v11 offset:4
	v_sub_f16_e32 v11, v30, v12
	s_movk_i32 s0, 0xfc
	v_lshlrev_b32_e32 v12, 1, v5
	v_and_or_b32 v14, v12, s0, v16
	v_fma_f16 v13, v30, 2.0, -v11
	v_lshl_add_u32 v30, v14, 1, 0
	ds_write_b16 v30, v13
	ds_write_b16 v30, v11 offset:4
	s_movk_i32 s0, 0x1fc
	v_lshlrev_b32_e32 v11, 1, v8
	v_sub_f16_e32 v13, v31, v22
	v_and_or_b32 v22, v11, s0, v16
	v_fma_f16 v14, v31, 2.0, -v13
	v_lshl_add_u32 v22, v22, 1, 0
	ds_write_b16 v22, v14
	ds_write_b16 v22, v13 offset:4
	v_lshlrev_b32_e32 v14, 1, v6
	v_sub_f16_e32 v13, v32, v23
	v_and_or_b32 v31, v14, s0, v16
	v_fma_f16 v23, v32, 2.0, -v13
	v_lshl_add_u32 v31, v31, 1, 0
	ds_write_b16 v31, v23
	ds_write_b16 v31, v13 offset:4
	v_lshlrev_b32_e32 v13, 1, v26
	s_movk_i32 s0, 0x3fc
	v_sub_f16_e32 v23, v33, v25
	v_and_or_b32 v26, v13, s0, v16
	v_fma_f16 v25, v33, 2.0, -v23
	v_lshl_add_u32 v26, v26, 1, 0
	ds_write_b16 v26, v25
	ds_write_b16 v26, v23 offset:4
	v_sub_f16_e32 v23, v36, v15
	s_movk_i32 s0, 0x2fc
	v_lshlrev_b32_e32 v15, 1, v10
	v_and_or_b32 v16, v15, s0, v16
	v_fma_f16 v25, v36, 2.0, -v23
	v_lshl_add_u32 v16, v16, 1, 0
	v_sub_f16_e32 v18, v27, v18
	ds_write_b16 v16, v25
	ds_write_b16 v16, v23 offset:4
	v_fma_f16 v23, v27, 2.0, -v18
	s_waitcnt lgkmcnt(0)
	; wave barrier
	s_waitcnt lgkmcnt(0)
	ds_read_u16 v25, v0
	ds_read_u16 v27, v0 offset:112
	ds_read_u16 v32, v0 offset:224
	;; [unrolled: 1-line block ×11, first 2 shown]
	s_waitcnt lgkmcnt(0)
	; wave barrier
	s_waitcnt lgkmcnt(0)
	ds_write_b16 v38, v23
	ds_write_b16 v38, v18 offset:4
	v_sub_f16_e32 v18, v29, v20
	v_fma_f16 v20, v29, 2.0, -v18
	ds_write_b16 v30, v20
	ds_write_b16 v30, v18 offset:4
	v_sub_f16_e32 v18, v34, v19
	v_fma_f16 v19, v34, 2.0, -v18
	;; [unrolled: 4-line block ×5, first 2 shown]
	ds_write_b16 v16, v17
	ds_write_b16 v16, v18 offset:4
	v_and_b32_e32 v16, 3, v7
	v_lshlrev_b32_e32 v17, 2, v16
	s_waitcnt lgkmcnt(0)
	; wave barrier
	s_waitcnt lgkmcnt(0)
	global_load_dword v17, v17, s[8:9] offset:8
	ds_read_u16 v18, v0 offset:672
	ds_read_u16 v19, v0 offset:784
	;; [unrolled: 1-line block ×4, first 2 shown]
	s_movk_i32 s0, 0x78
	v_and_b32_e32 v10, 15, v10
	s_waitcnt vmcnt(0)
	v_mul_f16_sdwa v22, v40, v17 dst_sel:DWORD dst_unused:UNUSED_PAD src0_sel:DWORD src1_sel:WORD_1
	v_mul_f16_sdwa v23, v39, v17 dst_sel:DWORD dst_unused:UNUSED_PAD src0_sel:DWORD src1_sel:WORD_1
	s_waitcnt lgkmcnt(3)
	v_mul_f16_sdwa v21, v18, v17 dst_sel:DWORD dst_unused:UNUSED_PAD src0_sel:DWORD src1_sel:WORD_1
	v_fma_f16 v18, v18, v17, -v22
	s_waitcnt lgkmcnt(2)
	v_mul_f16_sdwa v22, v19, v17 dst_sel:DWORD dst_unused:UNUSED_PAD src0_sel:DWORD src1_sel:WORD_1
	v_fma_f16 v19, v19, v17, -v23
	ds_read_u16 v23, v0 offset:1008
	ds_read_u16 v26, v0 offset:1120
	;; [unrolled: 1-line block ×3, first 2 shown]
	v_fma_f16 v21, v40, v17, v21
	v_mul_f16_sdwa v30, v42, v17 dst_sel:DWORD dst_unused:UNUSED_PAD src0_sel:DWORD src1_sel:WORD_1
	v_mul_f16_sdwa v31, v43, v17 dst_sel:DWORD dst_unused:UNUSED_PAD src0_sel:DWORD src1_sel:WORD_1
	;; [unrolled: 1-line block ×3, first 2 shown]
	v_sub_f16_e32 v21, v25, v21
	v_and_or_b32 v40, v9, s0, v16
	v_fma_f16 v22, v39, v17, v22
	s_waitcnt lgkmcnt(3)
	v_mul_f16_sdwa v29, v24, v17 dst_sel:DWORD dst_unused:UNUSED_PAD src0_sel:DWORD src1_sel:WORD_1
	v_fma_f16 v24, v24, v17, -v30
	s_waitcnt lgkmcnt(2)
	v_mul_f16_sdwa v30, v23, v17 dst_sel:DWORD dst_unused:UNUSED_PAD src0_sel:DWORD src1_sel:WORD_1
	v_fma_f16 v23, v23, v17, -v31
	;; [unrolled: 3-line block ×3, first 2 shown]
	s_waitcnt lgkmcnt(0)
	v_mul_f16_sdwa v34, v28, v17 dst_sel:DWORD dst_unused:UNUSED_PAD src0_sel:DWORD src1_sel:WORD_1
	v_mul_f16_sdwa v35, v45, v17 dst_sel:DWORD dst_unused:UNUSED_PAD src0_sel:DWORD src1_sel:WORD_1
	v_fma_f16 v25, v25, 2.0, -v21
	v_lshl_add_u32 v40, v40, 1, 0
	s_movk_i32 s0, 0xf8
	v_fma_f16 v29, v42, v17, v29
	v_fma_f16 v30, v43, v17, v30
	;; [unrolled: 1-line block ×4, first 2 shown]
	v_fma_f16 v17, v28, v17, -v35
	ds_read_u16 v28, v0
	ds_read_u16 v35, v0 offset:112
	ds_read_u16 v37, v0 offset:224
	;; [unrolled: 1-line block ×4, first 2 shown]
	s_waitcnt lgkmcnt(0)
	; wave barrier
	s_waitcnt lgkmcnt(0)
	ds_write_b16 v40, v25
	ds_write_b16 v40, v21 offset:8
	v_sub_f16_e32 v21, v27, v22
	v_and_or_b32 v25, v12, s0, v16
	v_fma_f16 v22, v27, 2.0, -v21
	v_lshl_add_u32 v25, v25, 1, 0
	s_movk_i32 s0, 0x1f8
	ds_write_b16 v25, v22
	ds_write_b16 v25, v21 offset:8
	v_sub_f16_e32 v21, v32, v29
	v_and_or_b32 v27, v11, s0, v16
	v_fma_f16 v22, v32, 2.0, -v21
	v_lshl_add_u32 v27, v27, 1, 0
	ds_write_b16 v27, v22
	ds_write_b16 v27, v21 offset:8
	v_sub_f16_e32 v21, v33, v30
	v_and_or_b32 v29, v14, s0, v16
	v_fma_f16 v22, v33, 2.0, -v21
	v_lshl_add_u32 v29, v29, 1, 0
	s_movk_i32 s0, 0x3f8
	ds_write_b16 v29, v22
	ds_write_b16 v29, v21 offset:8
	v_sub_f16_e32 v21, v36, v31
	v_and_or_b32 v30, v13, s0, v16
	v_fma_f16 v22, v36, 2.0, -v21
	v_lshl_add_u32 v30, v30, 1, 0
	s_movk_i32 s0, 0x2f8
	ds_write_b16 v30, v22
	ds_write_b16 v30, v21 offset:8
	v_sub_f16_e32 v21, v41, v34
	v_and_or_b32 v16, v15, s0, v16
	v_fma_f16 v22, v41, 2.0, -v21
	v_lshl_add_u32 v16, v16, 1, 0
	v_sub_f16_e32 v18, v28, v18
	ds_write_b16 v16, v22
	ds_write_b16 v16, v21 offset:8
	v_fma_f16 v21, v28, 2.0, -v18
	s_waitcnt lgkmcnt(0)
	; wave barrier
	s_waitcnt lgkmcnt(0)
	ds_read_u16 v22, v0
	ds_read_u16 v28, v0 offset:112
	ds_read_u16 v31, v0 offset:224
	;; [unrolled: 1-line block ×11, first 2 shown]
	s_waitcnt lgkmcnt(0)
	; wave barrier
	s_waitcnt lgkmcnt(0)
	ds_write_b16 v40, v21
	ds_write_b16 v40, v18 offset:8
	v_sub_f16_e32 v18, v35, v19
	v_fma_f16 v19, v35, 2.0, -v18
	ds_write_b16 v25, v19
	ds_write_b16 v25, v18 offset:8
	v_sub_f16_e32 v18, v37, v24
	v_fma_f16 v19, v37, 2.0, -v18
	ds_write_b16 v27, v19
	ds_write_b16 v27, v18 offset:8
	v_sub_f16_e32 v18, v38, v23
	v_fma_f16 v19, v38, 2.0, -v18
	ds_write_b16 v29, v19
	ds_write_b16 v29, v18 offset:8
	v_sub_f16_e32 v18, v39, v26
	v_fma_f16 v19, v39, 2.0, -v18
	v_sub_f16_e32 v17, v20, v17
	ds_write_b16 v30, v19
	ds_write_b16 v30, v18 offset:8
	v_fma_f16 v18, v20, 2.0, -v17
	ds_write_b16 v16, v18
	ds_write_b16 v16, v17 offset:8
	v_and_b32_e32 v16, 7, v7
	v_lshlrev_b32_e32 v17, 2, v16
	s_waitcnt lgkmcnt(0)
	; wave barrier
	s_waitcnt lgkmcnt(0)
	global_load_dword v17, v17, s[8:9] offset:24
	ds_read_u16 v18, v0 offset:672
	ds_read_u16 v19, v0 offset:784
	;; [unrolled: 1-line block ×4, first 2 shown]
	s_movk_i32 s0, 0x70
	v_and_or_b32 v40, v9, s0, v16
	v_lshl_add_u32 v40, v40, 1, 0
	s_movk_i32 s0, 0xf0
	s_waitcnt vmcnt(0)
	v_mul_f16_sdwa v23, v36, v17 dst_sel:DWORD dst_unused:UNUSED_PAD src0_sel:DWORD src1_sel:WORD_1
	v_mul_f16_sdwa v24, v34, v17 dst_sel:DWORD dst_unused:UNUSED_PAD src0_sel:DWORD src1_sel:WORD_1
	s_waitcnt lgkmcnt(3)
	v_mul_f16_sdwa v21, v18, v17 dst_sel:DWORD dst_unused:UNUSED_PAD src0_sel:DWORD src1_sel:WORD_1
	v_fma_f16 v18, v18, v17, -v23
	s_waitcnt lgkmcnt(2)
	v_mul_f16_sdwa v23, v19, v17 dst_sel:DWORD dst_unused:UNUSED_PAD src0_sel:DWORD src1_sel:WORD_1
	v_fma_f16 v19, v19, v17, -v24
	ds_read_u16 v24, v0 offset:1008
	ds_read_u16 v26, v0 offset:1120
	;; [unrolled: 1-line block ×3, first 2 shown]
	v_fma_f16 v21, v36, v17, v21
	v_fma_f16 v23, v34, v17, v23
	v_mul_f16_sdwa v30, v42, v17 dst_sel:DWORD dst_unused:UNUSED_PAD src0_sel:DWORD src1_sel:WORD_1
	v_mul_f16_sdwa v34, v43, v17 dst_sel:DWORD dst_unused:UNUSED_PAD src0_sel:DWORD src1_sel:WORD_1
	;; [unrolled: 1-line block ×3, first 2 shown]
	v_sub_f16_e32 v21, v22, v21
	s_waitcnt lgkmcnt(3)
	v_mul_f16_sdwa v29, v25, v17 dst_sel:DWORD dst_unused:UNUSED_PAD src0_sel:DWORD src1_sel:WORD_1
	v_fma_f16 v25, v25, v17, -v30
	s_waitcnt lgkmcnt(2)
	v_mul_f16_sdwa v30, v24, v17 dst_sel:DWORD dst_unused:UNUSED_PAD src0_sel:DWORD src1_sel:WORD_1
	v_fma_f16 v24, v24, v17, -v34
	;; [unrolled: 3-line block ×3, first 2 shown]
	s_waitcnt lgkmcnt(0)
	v_mul_f16_sdwa v35, v27, v17 dst_sel:DWORD dst_unused:UNUSED_PAD src0_sel:DWORD src1_sel:WORD_1
	v_mul_f16_sdwa v36, v45, v17 dst_sel:DWORD dst_unused:UNUSED_PAD src0_sel:DWORD src1_sel:WORD_1
	v_fma_f16 v22, v22, 2.0, -v21
	v_fma_f16 v29, v42, v17, v29
	v_fma_f16 v30, v43, v17, v30
	;; [unrolled: 1-line block ×4, first 2 shown]
	v_fma_f16 v17, v27, v17, -v36
	ds_read_u16 v27, v0
	ds_read_u16 v36, v0 offset:112
	ds_read_u16 v37, v0 offset:224
	;; [unrolled: 1-line block ×4, first 2 shown]
	s_waitcnt lgkmcnt(0)
	; wave barrier
	s_waitcnt lgkmcnt(0)
	ds_write_b16 v40, v22
	ds_write_b16 v40, v21 offset:16
	v_sub_f16_e32 v21, v28, v23
	v_and_or_b32 v23, v12, s0, v16
	v_fma_f16 v22, v28, 2.0, -v21
	v_lshl_add_u32 v23, v23, 1, 0
	s_movk_i32 s0, 0x1f0
	ds_write_b16 v23, v22
	ds_write_b16 v23, v21 offset:16
	v_sub_f16_e32 v21, v31, v29
	v_and_or_b32 v28, v11, s0, v16
	v_fma_f16 v22, v31, 2.0, -v21
	v_lshl_add_u32 v28, v28, 1, 0
	ds_write_b16 v28, v22
	ds_write_b16 v28, v21 offset:16
	v_sub_f16_e32 v21, v32, v30
	v_and_or_b32 v29, v14, s0, v16
	v_fma_f16 v22, v32, 2.0, -v21
	v_lshl_add_u32 v29, v29, 1, 0
	s_movk_i32 s0, 0x3f0
	ds_write_b16 v29, v22
	ds_write_b16 v29, v21 offset:16
	v_sub_f16_e32 v21, v33, v34
	v_and_or_b32 v30, v13, s0, v16
	v_fma_f16 v22, v33, 2.0, -v21
	v_lshl_add_u32 v30, v30, 1, 0
	s_movk_i32 s0, 0x2f0
	ds_write_b16 v30, v22
	ds_write_b16 v30, v21 offset:16
	v_sub_f16_e32 v21, v41, v35
	v_and_or_b32 v16, v15, s0, v16
	v_fma_f16 v22, v41, 2.0, -v21
	v_lshl_add_u32 v16, v16, 1, 0
	v_sub_f16_e32 v18, v27, v18
	ds_write_b16 v16, v22
	ds_write_b16 v16, v21 offset:16
	v_fma_f16 v21, v27, 2.0, -v18
	s_waitcnt lgkmcnt(0)
	; wave barrier
	s_waitcnt lgkmcnt(0)
	ds_read_u16 v22, v0
	ds_read_u16 v27, v0 offset:112
	ds_read_u16 v31, v0 offset:224
	;; [unrolled: 1-line block ×11, first 2 shown]
	s_waitcnt lgkmcnt(0)
	; wave barrier
	s_waitcnt lgkmcnt(0)
	ds_write_b16 v40, v21
	ds_write_b16 v40, v18 offset:16
	v_sub_f16_e32 v18, v36, v19
	v_fma_f16 v19, v36, 2.0, -v18
	ds_write_b16 v23, v19
	ds_write_b16 v23, v18 offset:16
	v_sub_f16_e32 v18, v37, v25
	v_fma_f16 v19, v37, 2.0, -v18
	;; [unrolled: 4-line block ×4, first 2 shown]
	v_sub_f16_e32 v17, v20, v17
	ds_write_b16 v30, v19
	ds_write_b16 v30, v18 offset:16
	v_fma_f16 v18, v20, 2.0, -v17
	ds_write_b16 v16, v18
	ds_write_b16 v16, v17 offset:16
	v_and_b32_e32 v16, 15, v5
	v_lshlrev_b32_e32 v18, 2, v10
	s_waitcnt lgkmcnt(0)
	; wave barrier
	s_waitcnt lgkmcnt(0)
	v_lshlrev_b32_e32 v17, 2, v16
	global_load_dword v19, v18, s[8:9] offset:56
	global_load_ushort v20, v17, s[8:9] offset:56
	v_and_b32_e32 v17, 15, v6
	v_lshlrev_b32_e32 v21, 2, v17
	global_load_ushort v23, v21, s[8:9] offset:58
	global_load_ushort v24, v21, s[8:9] offset:56
	;; [unrolled: 1-line block ×3, first 2 shown]
	v_and_b32_e32 v18, 15, v7
	v_lshlrev_b32_e32 v21, 2, v18
	global_load_dword v21, v21, s[8:9] offset:56
	ds_read_u16 v26, v0 offset:784
	ds_read_u16 v28, v0 offset:672
	s_movk_i32 s0, 0x60
	v_and_or_b32 v9, v9, s0, v18
	s_movk_i32 s0, 0xe0
	v_lshl_add_u32 v9, v9, 1, 0
	v_and_or_b32 v12, v12, s0, v16
	v_lshl_add_u32 v12, v12, 1, 0
	s_movk_i32 s0, 0x1e0
	v_and_or_b32 v11, v11, s0, v18
	v_lshl_add_u32 v11, v11, 1, 0
	v_and_or_b32 v14, v14, s0, v17
	v_lshl_add_u32 v14, v14, 1, 0
	s_movk_i32 s0, 0x3e0
	v_and_or_b32 v13, v13, s0, v18
	s_movk_i32 s0, 0x2e0
	v_lshl_add_u32 v13, v13, 1, 0
	v_and_or_b32 v10, v15, s0, v10
	v_lshl_add_u32 v10, v10, 1, 0
	v_lshrrev_b32_e32 v6, 5, v6
	v_mul_u32_u24_e32 v6, 0x60, v6
	v_cmp_gt_u32_e64 s[0:1], 40, v7
	s_waitcnt vmcnt(5) lgkmcnt(1)
	v_mul_f16_sdwa v29, v26, v19 dst_sel:DWORD dst_unused:UNUSED_PAD src0_sel:DWORD src1_sel:WORD_1
	s_waitcnt vmcnt(4)
	v_fma_f16 v29, v34, v20, v29
	v_mul_f16_sdwa v30, v34, v19 dst_sel:DWORD dst_unused:UNUSED_PAD src0_sel:DWORD src1_sel:WORD_1
	ds_read_u16 v34, v0 offset:1008
	v_fma_f16 v20, v26, v20, -v30
	ds_read_u16 v26, v0 offset:1120
	ds_read_u16 v30, v0 offset:1232
	;; [unrolled: 1-line block ×3, first 2 shown]
	v_sub_f16_e32 v16, v27, v29
	s_waitcnt vmcnt(0)
	v_mul_f16_sdwa v38, v42, v21 dst_sel:DWORD dst_unused:UNUSED_PAD src0_sel:DWORD src1_sel:WORD_1
	s_waitcnt lgkmcnt(3)
	v_mul_f16_e32 v37, v34, v23
	v_mul_f16_e32 v23, v43, v23
	v_fma_f16 v23, v34, v24, -v23
	v_mul_f16_sdwa v34, v28, v21 dst_sel:DWORD dst_unused:UNUSED_PAD src0_sel:DWORD src1_sel:WORD_1
	v_fma_f16 v34, v35, v21, v34
	v_mul_f16_sdwa v35, v35, v21 dst_sel:DWORD dst_unused:UNUSED_PAD src0_sel:DWORD src1_sel:WORD_1
	v_fma_f16 v28, v28, v21, -v35
	s_waitcnt lgkmcnt(0)
	v_mul_f16_sdwa v35, v36, v21 dst_sel:DWORD dst_unused:UNUSED_PAD src0_sel:DWORD src1_sel:WORD_1
	v_fma_f16 v36, v36, v21, -v38
	v_mul_f16_sdwa v38, v26, v21 dst_sel:DWORD dst_unused:UNUSED_PAD src0_sel:DWORD src1_sel:WORD_1
	v_mul_f16_sdwa v39, v44, v21 dst_sel:DWORD dst_unused:UNUSED_PAD src0_sel:DWORD src1_sel:WORD_1
	v_fma_f16 v35, v42, v21, v35
	v_fma_f16 v38, v44, v21, v38
	v_fma_f16 v21, v26, v21, -v39
	v_mul_f16_e32 v26, v30, v25
	v_mul_f16_e32 v25, v45, v25
	v_fma_f16 v26, v45, v19, v26
	v_fma_f16 v19, v30, v19, -v25
	v_sub_f16_e32 v25, v22, v34
	v_fma_f16 v22, v22, 2.0, -v25
	v_fma_f16 v37, v43, v24, v37
	ds_read_u16 v24, v0 offset:560
	ds_read_u16 v30, v0
	ds_read_u16 v34, v0 offset:112
	ds_read_u16 v39, v0 offset:224
	ds_read_u16 v40, v0 offset:336
	ds_read_u16 v42, v0 offset:448
	s_waitcnt lgkmcnt(0)
	; wave barrier
	s_waitcnt lgkmcnt(0)
	ds_write_b16 v9, v22
	ds_write_b16 v9, v25 offset:32
	v_fma_f16 v22, v27, 2.0, -v16
	ds_write_b16 v12, v22
	ds_write_b16 v12, v16 offset:32
	v_sub_f16_e32 v16, v31, v35
	v_fma_f16 v22, v31, 2.0, -v16
	ds_write_b16 v11, v22
	ds_write_b16 v11, v16 offset:32
	v_sub_f16_e32 v16, v32, v37
	;; [unrolled: 4-line block ×3, first 2 shown]
	v_fma_f16 v17, v33, 2.0, -v16
	v_sub_f16_e32 v15, v41, v26
	ds_write_b16 v13, v17
	ds_write_b16 v13, v16 offset:32
	v_fma_f16 v16, v41, 2.0, -v15
	ds_write_b16 v10, v16
	v_sub_f16_e32 v16, v30, v28
	v_fma_f16 v17, v30, 2.0, -v16
	ds_write_b16 v10, v15 offset:32
	s_waitcnt lgkmcnt(0)
	; wave barrier
	s_waitcnt lgkmcnt(0)
	ds_read_u16 v25, v0
	ds_read_u16 v26, v0 offset:112
	ds_read_u16 v27, v0 offset:224
	;; [unrolled: 1-line block ×11, first 2 shown]
	s_waitcnt lgkmcnt(0)
	; wave barrier
	s_waitcnt lgkmcnt(0)
	ds_write_b16 v9, v17
	ds_write_b16 v9, v16 offset:32
	v_sub_f16_e32 v9, v34, v20
	v_fma_f16 v15, v34, 2.0, -v9
	ds_write_b16 v12, v15
	ds_write_b16 v12, v9 offset:32
	v_sub_f16_e32 v9, v39, v36
	v_fma_f16 v12, v39, 2.0, -v9
	;; [unrolled: 4-line block ×4, first 2 shown]
	v_sub_f16_e32 v12, v24, v19
	v_and_b32_e32 v23, 31, v7
	v_fma_f16 v14, v24, 2.0, -v12
	ds_write_b16 v13, v11
	ds_write_b16 v13, v9 offset:32
	ds_write_b16 v10, v14
	ds_write_b16 v10, v12 offset:32
	v_lshlrev_b32_e32 v9, 3, v23
	s_waitcnt lgkmcnt(0)
	; wave barrier
	s_waitcnt lgkmcnt(0)
	global_load_dwordx2 v[9:10], v9, s[8:9] offset:120
	v_and_b32_e32 v24, 31, v5
	v_lshlrev_b32_e32 v11, 3, v24
	global_load_dwordx2 v[11:12], v11, s[8:9] offset:120
	v_and_b32_e32 v42, 31, v8
	v_lshlrev_b32_e32 v13, 3, v42
	global_load_dwordx2 v[13:14], v13, s[8:9] offset:120
	v_lshlrev_b32_e32 v15, 3, v46
	global_load_dwordx2 v[21:22], v15, s[8:9] offset:120
	ds_read_u16 v16, v0 offset:448
	ds_read_u16 v19, v0 offset:560
	;; [unrolled: 1-line block ×6, first 2 shown]
	v_lshrrev_b32_e32 v8, 5, v8
	v_mul_u32_u24_e32 v8, 0x60, v8
	v_or_b32_e32 v8, v8, v42
	v_lshl_add_u32 v42, v8, 1, 0
	v_or_b32_e32 v8, v6, v46
	s_waitcnt vmcnt(3) lgkmcnt(5)
	v_mul_f16_sdwa v15, v16, v9 dst_sel:DWORD dst_unused:UNUSED_PAD src0_sel:DWORD src1_sel:WORD_1
	v_fma_f16 v15, v18, v9, v15
	v_mul_f16_sdwa v18, v18, v9 dst_sel:DWORD dst_unused:UNUSED_PAD src0_sel:DWORD src1_sel:WORD_1
	v_fma_f16 v16, v16, v9, -v18
	s_waitcnt lgkmcnt(0)
	v_mul_f16_sdwa v18, v35, v10 dst_sel:DWORD dst_unused:UNUSED_PAD src0_sel:DWORD src1_sel:WORD_1
	ds_read_u16 v9, v0 offset:1008
	ds_read_u16 v39, v0 offset:1120
	;; [unrolled: 1-line block ×3, first 2 shown]
	v_fma_f16 v28, v30, v10, v18
	v_mul_f16_sdwa v18, v30, v10 dst_sel:DWORD dst_unused:UNUSED_PAD src0_sel:DWORD src1_sel:WORD_1
	v_fma_f16 v35, v35, v10, -v18
	s_waitcnt vmcnt(2)
	v_mul_f16_sdwa v10, v19, v11 dst_sel:DWORD dst_unused:UNUSED_PAD src0_sel:DWORD src1_sel:WORD_1
	v_fma_f16 v18, v29, v11, v10
	v_mul_f16_sdwa v10, v29, v11 dst_sel:DWORD dst_unused:UNUSED_PAD src0_sel:DWORD src1_sel:WORD_1
	v_fma_f16 v29, v19, v11, -v10
	s_waitcnt lgkmcnt(2)
	v_mul_f16_sdwa v10, v9, v12 dst_sel:DWORD dst_unused:UNUSED_PAD src0_sel:DWORD src1_sel:WORD_1
	v_fma_f16 v30, v32, v12, v10
	v_mul_f16_sdwa v10, v32, v12 dst_sel:DWORD dst_unused:UNUSED_PAD src0_sel:DWORD src1_sel:WORD_1
	v_fma_f16 v36, v9, v12, -v10
	s_waitcnt vmcnt(1)
	v_mul_f16_sdwa v9, v20, v13 dst_sel:DWORD dst_unused:UNUSED_PAD src0_sel:DWORD src1_sel:WORD_1
	v_fma_f16 v19, v31, v13, v9
	v_mul_f16_sdwa v9, v31, v13 dst_sel:DWORD dst_unused:UNUSED_PAD src0_sel:DWORD src1_sel:WORD_1
	v_fma_f16 v31, v20, v13, -v9
	s_waitcnt lgkmcnt(1)
	v_mul_f16_sdwa v9, v39, v14 dst_sel:DWORD dst_unused:UNUSED_PAD src0_sel:DWORD src1_sel:WORD_1
	;; [unrolled: 10-line block ×3, first 2 shown]
	v_fma_f16 v34, v38, v22, v9
	v_mul_f16_sdwa v9, v38, v22 dst_sel:DWORD dst_unused:UNUSED_PAD src0_sel:DWORD src1_sel:WORD_1
	v_fma_f16 v38, v40, v22, -v9
	v_add_f16_e32 v9, v15, v28
	v_fma_f16 v9, v9, -0.5, v25
	v_sub_f16_e32 v10, v16, v35
	v_fma_f16 v13, v10, s6, v9
	v_fma_f16 v14, v10, s7, v9
	v_add_f16_e32 v9, v18, v30
	v_fma_f16 v9, v9, -0.5, v26
	v_sub_f16_e32 v10, v29, v36
	v_fma_f16 v21, v10, s6, v9
	v_fma_f16 v22, v10, s7, v9
	v_add_f16_e32 v9, v19, v32
	v_fma_f16 v10, v9, -0.5, v27
	v_sub_f16_e32 v11, v31, v37
	v_fma_f16 v9, v11, s6, v10
	v_fma_f16 v10, v11, s7, v10
	v_add_f16_e32 v11, v20, v34
	v_fma_f16 v12, v11, -0.5, v44
	v_sub_f16_e32 v39, v33, v38
	v_fma_f16 v11, v39, s6, v12
	v_fma_f16 v12, v39, s7, v12
	v_lshrrev_b32_e32 v39, 5, v7
	v_mul_u32_u24_e32 v39, 0x60, v39
	v_or_b32_e32 v23, v39, v23
	v_add_f16_e32 v25, v25, v15
	v_add_f16_e32 v25, v25, v28
	v_lshl_add_u32 v39, v23, 1, 0
	ds_read_u16 v45, v0
	ds_read_u16 v43, v0 offset:112
	ds_read_u16 v41, v0 offset:224
	s_waitcnt lgkmcnt(0)
	; wave barrier
	s_waitcnt lgkmcnt(0)
	ds_write_b16 v39, v25
	ds_write_b16 v39, v13 offset:64
	ds_write_b16 v39, v14 offset:128
	v_lshrrev_b32_e32 v13, 5, v5
	v_mul_u32_u24_e32 v13, 0x60, v13
	v_or_b32_e32 v13, v13, v24
	v_add_f16_e32 v14, v26, v18
	v_lshl_add_u32 v40, v13, 1, 0
	v_add_f16_e32 v13, v27, v19
	v_add_f16_e32 v6, v44, v20
	;; [unrolled: 1-line block ×5, first 2 shown]
	v_lshl_add_u32 v44, v8, 1, 0
	ds_write_b16 v40, v14
	ds_write_b16 v40, v21 offset:64
	ds_write_b16 v40, v22 offset:128
	ds_write_b16 v42, v13
	ds_write_b16 v42, v9 offset:64
	ds_write_b16 v42, v10 offset:128
	;; [unrolled: 3-line block ×3, first 2 shown]
	s_waitcnt lgkmcnt(0)
	; wave barrier
	s_waitcnt lgkmcnt(0)
	ds_read_u16 v21, v0
	ds_read_u16 v22, v0 offset:192
	ds_read_u16 v23, v0 offset:384
	;; [unrolled: 1-line block ×6, first 2 shown]
                                        ; implicit-def: $vgpr13
                                        ; implicit-def: $vgpr14
	s_and_saveexec_b64 s[4:5], s[0:1]
	s_cbranch_execz .LBB0_15
; %bb.14:
	ds_read_u16 v9, v0 offset:112
	ds_read_u16 v10, v0 offset:304
	;; [unrolled: 1-line block ×7, first 2 shown]
.LBB0_15:
	s_or_b64 exec, exec, s[4:5]
	v_add_f16_e32 v8, v45, v16
	v_add_f16_e32 v46, v8, v35
	;; [unrolled: 1-line block ×3, first 2 shown]
	v_fma_f16 v8, v8, -0.5, v45
	v_sub_f16_e32 v15, v15, v28
	v_fma_f16 v28, v15, s7, v8
	v_fma_f16 v35, v15, s6, v8
	v_add_f16_e32 v8, v43, v29
	v_add_f16_e32 v45, v8, v36
	;; [unrolled: 1-line block ×3, first 2 shown]
	v_fma_f16 v8, v8, -0.5, v43
	v_sub_f16_e32 v15, v18, v30
	v_fma_f16 v29, v15, s7, v8
	v_fma_f16 v30, v15, s6, v8
	v_add_f16_e32 v8, v41, v31
	v_add_f16_e32 v36, v8, v37
	;; [unrolled: 1-line block ×3, first 2 shown]
	v_fma_f16 v15, v8, -0.5, v41
	v_sub_f16_e32 v16, v19, v32
	v_add_f16_e32 v18, v33, v38
	v_fma_f16 v8, v16, s7, v15
	v_fma_f16 v15, v16, s6, v15
	v_add_f16_e32 v16, v17, v33
	v_fma_f16 v18, v18, -0.5, v17
	v_sub_f16_e32 v19, v20, v34
	v_add_f16_e32 v16, v16, v38
	v_fma_f16 v17, v19, s7, v18
	v_fma_f16 v18, v19, s6, v18
	s_waitcnt lgkmcnt(0)
	; wave barrier
	s_waitcnt lgkmcnt(0)
	ds_write_b16 v39, v46
	ds_write_b16 v39, v28 offset:64
	ds_write_b16 v39, v35 offset:128
	ds_write_b16 v40, v45
	ds_write_b16 v40, v29 offset:64
	ds_write_b16 v40, v30 offset:128
	;; [unrolled: 3-line block ×4, first 2 shown]
	s_waitcnt lgkmcnt(0)
	; wave barrier
	s_waitcnt lgkmcnt(0)
	ds_read_u16 v28, v0
	ds_read_u16 v29, v0 offset:192
	ds_read_u16 v30, v0 offset:384
	;; [unrolled: 1-line block ×6, first 2 shown]
                                        ; implicit-def: $vgpr19
                                        ; implicit-def: $vgpr20
	s_and_saveexec_b64 s[4:5], s[0:1]
	s_cbranch_execz .LBB0_17
; %bb.16:
	ds_read_u16 v8, v0 offset:112
	ds_read_u16 v15, v0 offset:304
	;; [unrolled: 1-line block ×7, first 2 shown]
.LBB0_17:
	s_or_b64 exec, exec, s[4:5]
	s_and_saveexec_b64 s[4:5], vcc
	s_cbranch_execz .LBB0_20
; %bb.18:
	v_mul_u32_u24_e32 v0, 6, v7
	v_lshlrev_b32_e32 v0, 2, v0
	global_load_dwordx4 v[35:38], v0, s[8:9] offset:376
	global_load_dwordx2 v[39:40], v0, s[8:9] offset:392
	v_mul_lo_u32 v0, s3, v3
	v_mul_lo_u32 v41, s2, v4
	v_mad_u64_u32 v[3:4], s[2:3], s2, v3, 0
	s_movk_i32 s10, 0x3a52
	s_mov_b32 s4, 0xbcab
	v_add3_u32 v4, v4, v41, v0
	s_movk_i32 s11, 0x39e0
	s_mov_b32 s12, 0xaaaaaaab
	s_mov_b32 s6, 0xbb00
	;; [unrolled: 1-line block ×3, first 2 shown]
	v_lshlrev_b64 v[3:4], 2, v[3:4]
	s_mov_b32 s3, 0xb574
	v_add_co_u32_e32 v3, vcc, s14, v3
	s_movk_i32 s7, 0x3574
	s_movk_i32 s5, 0x2b26
	s_waitcnt vmcnt(1)
	v_lshrrev_b32_e32 v0, 16, v35
	v_mul_f16_e32 v41, v22, v35
	s_waitcnt vmcnt(0) lgkmcnt(0)
	v_mul_f16_sdwa v42, v34, v40 dst_sel:DWORD dst_unused:UNUSED_PAD src0_sel:DWORD src1_sel:WORD_1
	v_mul_f16_sdwa v43, v32, v38 dst_sel:DWORD dst_unused:UNUSED_PAD src0_sel:DWORD src1_sel:WORD_1
	;; [unrolled: 1-line block ×10, first 2 shown]
	v_fma_f16 v41, v29, v0, v41
	v_mul_f16_e32 v0, v22, v0
	v_fma_f16 v27, v27, v40, v42
	v_fma_f16 v26, v26, v38, v43
	;; [unrolled: 1-line block ×5, first 2 shown]
	v_fma_f16 v34, v34, v40, -v47
	v_fma_f16 v22, v31, v37, -v48
	;; [unrolled: 1-line block ×6, first 2 shown]
	v_sub_f16_e32 v33, v41, v27
	v_sub_f16_e32 v36, v26, v24
	v_sub_f16_e32 v37, v23, v25
	v_add_f16_e32 v29, v31, v22
	v_add_f16_e32 v35, v30, v32
	;; [unrolled: 1-line block ×4, first 2 shown]
	v_sub_f16_e32 v25, v30, v32
	v_add_f16_e32 v32, v0, v34
	v_add_f16_e32 v27, v41, v27
	v_sub_f16_e32 v22, v31, v22
	v_sub_f16_e32 v26, v33, v36
	;; [unrolled: 1-line block ×3, first 2 shown]
	v_add_f16_e32 v31, v36, v37
	v_sub_f16_e32 v36, v29, v35
	v_sub_f16_e32 v39, v24, v23
	v_add_f16_e32 v42, v32, v35
	v_sub_f16_e32 v38, v27, v24
	v_sub_f16_e32 v37, v37, v33
	v_add_f16_e32 v31, v33, v31
	v_sub_f16_e32 v33, v32, v29
	v_mul_f16_e32 v36, 0x2b26, v36
	v_mul_f16_e32 v39, 0x2b26, v39
	v_add_f16_e32 v29, v29, v42
	v_mul_f16_e32 v43, 0x3a52, v38
	v_mul_f16_e32 v45, 0x3a52, v33
	v_fma_f16 v33, v33, s10, v36
	v_fma_f16 v38, v38, s10, v39
	v_add_f16_e32 v28, v28, v29
	v_sub_f16_e32 v32, v35, v32
	s_mov_b32 s10, 0xb9e0
	v_add_f16_e32 v40, v27, v23
	v_fma_f16 v29, v29, s4, v28
	v_fma_f16 v35, v32, s10, -v45
	v_fma_f16 v32, v32, s11, -v36
	v_sub_f16_e32 v0, v0, v34
	v_sub_f16_e32 v34, v22, v25
	v_add_f16_e32 v41, v22, v25
	v_add_f16_e32 v24, v24, v40
	;; [unrolled: 1-line block ×5, first 2 shown]
	v_mul_hi_u32 v32, v7, s12
	v_sub_f16_e32 v22, v0, v22
	v_mul_f16_e32 v34, 0x3846, v34
	v_add_f16_e32 v40, v0, v41
	v_add_f16_e32 v21, v21, v24
	v_sub_f16_e32 v23, v23, v27
	v_sub_f16_e32 v0, v25, v0
	v_fma_f16 v24, v24, s4, v21
	v_fma_f16 v27, v23, s10, -v43
	v_mul_f16_e32 v25, 0xbb00, v0
	v_fma_f16 v0, v0, s6, -v34
	v_fma_f16 v23, v23, s11, -v39
	v_fma_f16 v0, v40, s2, v0
	v_add_f16_e32 v23, v23, v24
	v_add_f16_e32 v38, v38, v24
	v_add_f16_e32 v27, v27, v24
	v_add_f16_e32 v24, v0, v23
	v_sub_f16_e32 v23, v23, v0
	v_lshrrev_b32_e32 v0, 6, v32
	s_movk_i32 s12, 0x60
	v_mul_lo_u32 v0, v0, s12
	v_mul_f16_e32 v30, 0x3846, v30
	v_mul_f16_e32 v41, 0xbb00, v37
	v_fma_f16 v44, v26, s3, v30
	v_sub_u32_e32 v32, v7, v0
	v_mov_b32_e32 v0, s15
	v_addc_co_u32_e32 v4, vcc, v0, v4, vcc
	v_lshlrev_b64 v[0:1], 2, v[1:2]
	v_fma_f16 v42, v22, s3, v34
	v_add_co_u32_e32 v2, vcc, v3, v0
	v_fma_f16 v22, v22, s7, -v25
	v_fma_f16 v30, v37, s6, -v30
	v_addc_co_u32_e32 v3, vcc, v4, v1, vcc
	v_lshlrev_b32_e32 v0, 2, v32
	v_fma_f16 v26, v26, s7, -v41
	v_fma_f16 v41, v31, s2, v44
	v_fma_f16 v42, v40, s2, v42
	;; [unrolled: 1-line block ×4, first 2 shown]
	v_add_co_u32_e32 v0, vcc, v2, v0
	v_fma_f16 v26, v31, s2, v26
	v_sub_f16_e32 v25, v27, v22
	v_sub_f16_e32 v31, v29, v30
	v_add_f16_e32 v29, v30, v29
	v_add_f16_e32 v22, v22, v27
	v_sub_f16_e32 v27, v33, v41
	v_add_f16_e32 v30, v42, v38
	v_addc_co_u32_e32 v1, vcc, 0, v3, vcc
	v_pack_b32_f16 v4, v21, v28
	v_add_f16_e32 v45, v26, v35
	v_sub_f16_e32 v26, v35, v26
	global_store_dword v[0:1], v4, off
	v_pack_b32_f16 v4, v30, v27
	global_store_dword v[0:1], v4, off offset:384
	v_pack_b32_f16 v4, v22, v26
	global_store_dword v[0:1], v4, off offset:768
	;; [unrolled: 2-line block ×3, first 2 shown]
	v_pack_b32_f16 v4, v24, v31
	v_sub_f16_e32 v44, v38, v42
	v_add_f16_e32 v46, v41, v33
	global_store_dword v[0:1], v4, off offset:1536
	v_pack_b32_f16 v4, v25, v45
	global_store_dword v[0:1], v4, off offset:1920
	v_pack_b32_f16 v4, v44, v46
	global_store_dword v[0:1], v4, off offset:2304
	v_add_u32_e32 v0, 56, v7
	v_cmp_gt_u32_e32 vcc, s12, v0
	s_and_b64 exec, exec, vcc
	s_cbranch_execz .LBB0_20
; %bb.19:
	v_subrev_u32_e32 v1, 40, v7
	v_cndmask_b32_e64 v1, v1, v5, s[0:1]
	v_mul_i32_i24_e32 v4, 6, v1
	v_mov_b32_e32 v5, 0
	v_lshlrev_b64 v[21:22], 2, v[4:5]
	v_mov_b32_e32 v1, s9
	v_add_co_u32_e32 v25, vcc, s8, v21
	v_addc_co_u32_e32 v26, vcc, v1, v22, vcc
	global_load_dwordx4 v[21:24], v[25:26], off offset:376
	global_load_dwordx2 v[27:28], v[25:26], off offset:392
	s_waitcnt vmcnt(1)
	v_mul_f16_sdwa v1, v15, v21 dst_sel:DWORD dst_unused:UNUSED_PAD src0_sel:DWORD src1_sel:WORD_1
	v_mul_f16_sdwa v4, v10, v21 dst_sel:DWORD dst_unused:UNUSED_PAD src0_sel:DWORD src1_sel:WORD_1
	v_mul_f16_sdwa v25, v16, v22 dst_sel:DWORD dst_unused:UNUSED_PAD src0_sel:DWORD src1_sel:WORD_1
	v_mul_f16_sdwa v26, v6, v22 dst_sel:DWORD dst_unused:UNUSED_PAD src0_sel:DWORD src1_sel:WORD_1
	v_mul_f16_sdwa v30, v11, v23 dst_sel:DWORD dst_unused:UNUSED_PAD src0_sel:DWORD src1_sel:WORD_1
	v_mul_f16_sdwa v32, v12, v24 dst_sel:DWORD dst_unused:UNUSED_PAD src0_sel:DWORD src1_sel:WORD_1
	s_waitcnt vmcnt(0)
	v_mul_f16_sdwa v33, v20, v27 dst_sel:DWORD dst_unused:UNUSED_PAD src0_sel:DWORD src1_sel:WORD_1
	v_mul_f16_sdwa v34, v14, v27 dst_sel:DWORD dst_unused:UNUSED_PAD src0_sel:DWORD src1_sel:WORD_1
	v_mul_f16_sdwa v35, v19, v28 dst_sel:DWORD dst_unused:UNUSED_PAD src0_sel:DWORD src1_sel:WORD_1
	v_mul_f16_sdwa v36, v13, v28 dst_sel:DWORD dst_unused:UNUSED_PAD src0_sel:DWORD src1_sel:WORD_1
	v_mul_f16_sdwa v29, v17, v23 dst_sel:DWORD dst_unused:UNUSED_PAD src0_sel:DWORD src1_sel:WORD_1
	v_mul_f16_sdwa v31, v18, v24 dst_sel:DWORD dst_unused:UNUSED_PAD src0_sel:DWORD src1_sel:WORD_1
	v_fma_f16 v1, v10, v21, v1
	v_fma_f16 v4, v15, v21, -v4
	v_fma_f16 v6, v6, v22, v25
	v_fma_f16 v10, v16, v22, -v26
	v_fma_f16 v15, v17, v23, -v30
	;; [unrolled: 1-line block ×3, first 2 shown]
	v_fma_f16 v14, v14, v27, v33
	v_fma_f16 v17, v20, v27, -v34
	v_fma_f16 v13, v13, v28, v35
	v_fma_f16 v18, v19, v28, -v36
	v_fma_f16 v11, v11, v23, v29
	v_fma_f16 v12, v12, v24, v31
	v_add_f16_e32 v19, v1, v13
	v_add_f16_e32 v20, v4, v18
	v_sub_f16_e32 v1, v1, v13
	v_sub_f16_e32 v4, v4, v18
	v_add_f16_e32 v13, v6, v14
	v_add_f16_e32 v18, v10, v17
	v_sub_f16_e32 v6, v6, v14
	v_sub_f16_e32 v10, v10, v17
	;; [unrolled: 4-line block ×4, first 2 shown]
	v_sub_f16_e32 v19, v19, v14
	v_sub_f16_e32 v20, v20, v17
	v_sub_f16_e32 v13, v14, v13
	v_sub_f16_e32 v18, v17, v18
	v_add_f16_e32 v23, v11, v6
	v_sub_f16_e32 v25, v11, v6
	v_sub_f16_e32 v6, v6, v1
	v_add_f16_e32 v14, v14, v15
	v_add_f16_e32 v15, v17, v16
	;; [unrolled: 1-line block ×3, first 2 shown]
	v_sub_f16_e32 v26, v12, v10
	v_sub_f16_e32 v11, v1, v11
	v_add_f16_e32 v1, v23, v1
	v_mul_f16_e32 v16, 0x3a52, v19
	v_mul_f16_e32 v17, 0x3a52, v20
	;; [unrolled: 1-line block ×6, first 2 shown]
	v_add_f16_e32 v9, v9, v14
	v_add_f16_e32 v8, v8, v15
	v_sub_f16_e32 v12, v4, v12
	v_sub_f16_e32 v10, v10, v4
	v_add_f16_e32 v4, v24, v4
	v_mul_f16_e32 v24, 0x3846, v26
	v_fma_f16 v13, v13, s5, v16
	v_fma_f16 v18, v18, s5, v17
	v_fma_f16 v19, v21, s11, -v19
	v_fma_f16 v20, v22, s11, -v20
	;; [unrolled: 1-line block ×4, first 2 shown]
	v_fma_f16 v21, v11, s3, v23
	v_fma_f16 v6, v6, s6, -v23
	v_fma_f16 v11, v11, s7, -v25
	v_fma_f16 v14, v14, s4, v9
	v_fma_f16 v15, v15, s4, v8
	v_fma_f16 v22, v12, s3, v24
	v_add_f16_e32 v13, v13, v14
	v_add_f16_e32 v18, v18, v15
	;; [unrolled: 1-line block ×6, first 2 shown]
	v_fma_f16 v16, v1, s2, v21
	v_fma_f16 v6, v1, s2, v6
	;; [unrolled: 1-line block ×4, first 2 shown]
	v_sub_f16_e32 v22, v15, v1
	v_add_f16_e32 v15, v1, v15
	v_mov_b32_e32 v1, v5
	v_mul_f16_e32 v26, 0xbb00, v10
	v_lshlrev_b64 v[0:1], 2, v[0:1]
	v_fma_f16 v10, v10, s6, -v24
	v_fma_f16 v12, v12, s7, -v26
	v_fma_f16 v10, v4, s2, v10
	v_fma_f16 v4, v4, s2, v12
	v_add_co_u32_e32 v0, vcc, v2, v0
	v_add_f16_e32 v21, v4, v14
	v_sub_f16_e32 v14, v14, v4
	v_addc_co_u32_e32 v1, vcc, v3, v1, vcc
	v_pack_b32_f16 v4, v9, v8
	global_store_dword v[0:1], v4, off
	v_add_u32_e32 v4, 0x98, v7
	v_lshlrev_b64 v[0:1], 2, v[4:5]
	v_add_f16_e32 v11, v17, v13
	v_sub_f16_e32 v12, v18, v16
	v_add_co_u32_e32 v0, vcc, v2, v0
	v_addc_co_u32_e32 v1, vcc, v3, v1, vcc
	v_pack_b32_f16 v4, v11, v12
	global_store_dword v[0:1], v4, off
	v_add_u32_e32 v4, 0xf8, v7
	v_lshlrev_b64 v[0:1], 2, v[4:5]
	v_pack_b32_f16 v4, v21, v22
	v_add_co_u32_e32 v0, vcc, v2, v0
	v_addc_co_u32_e32 v1, vcc, v3, v1, vcc
	global_store_dword v[0:1], v4, off
	v_add_u32_e32 v4, 0x158, v7
	v_lshlrev_b64 v[0:1], 2, v[4:5]
	v_sub_f16_e32 v23, v19, v10
	v_add_f16_e32 v24, v6, v20
	v_add_co_u32_e32 v0, vcc, v2, v0
	v_addc_co_u32_e32 v1, vcc, v3, v1, vcc
	v_pack_b32_f16 v4, v23, v24
	global_store_dword v[0:1], v4, off
	v_add_u32_e32 v4, 0x1b8, v7
	v_lshlrev_b64 v[0:1], 2, v[4:5]
	v_add_f16_e32 v10, v10, v19
	v_sub_f16_e32 v6, v20, v6
	v_add_co_u32_e32 v0, vcc, v2, v0
	v_addc_co_u32_e32 v1, vcc, v3, v1, vcc
	v_pack_b32_f16 v4, v10, v6
	global_store_dword v[0:1], v4, off
	v_add_u32_e32 v4, 0x218, v7
	v_lshlrev_b64 v[0:1], 2, v[4:5]
	v_pack_b32_f16 v4, v14, v15
	v_add_co_u32_e32 v0, vcc, v2, v0
	v_addc_co_u32_e32 v1, vcc, v3, v1, vcc
	global_store_dword v[0:1], v4, off
	v_add_u32_e32 v4, 0x278, v7
	v_lshlrev_b64 v[0:1], 2, v[4:5]
	v_sub_f16_e32 v13, v13, v17
	v_add_f16_e32 v16, v16, v18
	v_add_co_u32_e32 v0, vcc, v2, v0
	v_addc_co_u32_e32 v1, vcc, v3, v1, vcc
	v_pack_b32_f16 v2, v13, v16
	global_store_dword v[0:1], v2, off
.LBB0_20:
	s_endpgm
	.section	.rodata,"a",@progbits
	.p2align	6, 0x0
	.amdhsa_kernel fft_rtc_back_len672_factors_2_2_2_2_2_3_7_wgs_56_tpt_56_halfLds_half_op_CI_CI_unitstride_sbrr_dirReg
		.amdhsa_group_segment_fixed_size 0
		.amdhsa_private_segment_fixed_size 0
		.amdhsa_kernarg_size 104
		.amdhsa_user_sgpr_count 6
		.amdhsa_user_sgpr_private_segment_buffer 1
		.amdhsa_user_sgpr_dispatch_ptr 0
		.amdhsa_user_sgpr_queue_ptr 0
		.amdhsa_user_sgpr_kernarg_segment_ptr 1
		.amdhsa_user_sgpr_dispatch_id 0
		.amdhsa_user_sgpr_flat_scratch_init 0
		.amdhsa_user_sgpr_private_segment_size 0
		.amdhsa_uses_dynamic_stack 0
		.amdhsa_system_sgpr_private_segment_wavefront_offset 0
		.amdhsa_system_sgpr_workgroup_id_x 1
		.amdhsa_system_sgpr_workgroup_id_y 0
		.amdhsa_system_sgpr_workgroup_id_z 0
		.amdhsa_system_sgpr_workgroup_info 0
		.amdhsa_system_vgpr_workitem_id 0
		.amdhsa_next_free_vgpr 52
		.amdhsa_next_free_sgpr 28
		.amdhsa_reserve_vcc 1
		.amdhsa_reserve_flat_scratch 0
		.amdhsa_float_round_mode_32 0
		.amdhsa_float_round_mode_16_64 0
		.amdhsa_float_denorm_mode_32 3
		.amdhsa_float_denorm_mode_16_64 3
		.amdhsa_dx10_clamp 1
		.amdhsa_ieee_mode 1
		.amdhsa_fp16_overflow 0
		.amdhsa_exception_fp_ieee_invalid_op 0
		.amdhsa_exception_fp_denorm_src 0
		.amdhsa_exception_fp_ieee_div_zero 0
		.amdhsa_exception_fp_ieee_overflow 0
		.amdhsa_exception_fp_ieee_underflow 0
		.amdhsa_exception_fp_ieee_inexact 0
		.amdhsa_exception_int_div_zero 0
	.end_amdhsa_kernel
	.text
.Lfunc_end0:
	.size	fft_rtc_back_len672_factors_2_2_2_2_2_3_7_wgs_56_tpt_56_halfLds_half_op_CI_CI_unitstride_sbrr_dirReg, .Lfunc_end0-fft_rtc_back_len672_factors_2_2_2_2_2_3_7_wgs_56_tpt_56_halfLds_half_op_CI_CI_unitstride_sbrr_dirReg
                                        ; -- End function
	.section	.AMDGPU.csdata,"",@progbits
; Kernel info:
; codeLenInByte = 9064
; NumSgprs: 32
; NumVgprs: 52
; ScratchSize: 0
; MemoryBound: 0
; FloatMode: 240
; IeeeMode: 1
; LDSByteSize: 0 bytes/workgroup (compile time only)
; SGPRBlocks: 3
; VGPRBlocks: 12
; NumSGPRsForWavesPerEU: 32
; NumVGPRsForWavesPerEU: 52
; Occupancy: 4
; WaveLimiterHint : 1
; COMPUTE_PGM_RSRC2:SCRATCH_EN: 0
; COMPUTE_PGM_RSRC2:USER_SGPR: 6
; COMPUTE_PGM_RSRC2:TRAP_HANDLER: 0
; COMPUTE_PGM_RSRC2:TGID_X_EN: 1
; COMPUTE_PGM_RSRC2:TGID_Y_EN: 0
; COMPUTE_PGM_RSRC2:TGID_Z_EN: 0
; COMPUTE_PGM_RSRC2:TIDIG_COMP_CNT: 0
	.type	__hip_cuid_ff8f65a73bce42af,@object ; @__hip_cuid_ff8f65a73bce42af
	.section	.bss,"aw",@nobits
	.globl	__hip_cuid_ff8f65a73bce42af
__hip_cuid_ff8f65a73bce42af:
	.byte	0                               ; 0x0
	.size	__hip_cuid_ff8f65a73bce42af, 1

	.ident	"AMD clang version 19.0.0git (https://github.com/RadeonOpenCompute/llvm-project roc-6.4.0 25133 c7fe45cf4b819c5991fe208aaa96edf142730f1d)"
	.section	".note.GNU-stack","",@progbits
	.addrsig
	.addrsig_sym __hip_cuid_ff8f65a73bce42af
	.amdgpu_metadata
---
amdhsa.kernels:
  - .args:
      - .actual_access:  read_only
        .address_space:  global
        .offset:         0
        .size:           8
        .value_kind:     global_buffer
      - .offset:         8
        .size:           8
        .value_kind:     by_value
      - .actual_access:  read_only
        .address_space:  global
        .offset:         16
        .size:           8
        .value_kind:     global_buffer
      - .actual_access:  read_only
        .address_space:  global
        .offset:         24
        .size:           8
        .value_kind:     global_buffer
      - .actual_access:  read_only
        .address_space:  global
        .offset:         32
        .size:           8
        .value_kind:     global_buffer
      - .offset:         40
        .size:           8
        .value_kind:     by_value
      - .actual_access:  read_only
        .address_space:  global
        .offset:         48
        .size:           8
        .value_kind:     global_buffer
      - .actual_access:  read_only
        .address_space:  global
        .offset:         56
        .size:           8
        .value_kind:     global_buffer
      - .offset:         64
        .size:           4
        .value_kind:     by_value
      - .actual_access:  read_only
        .address_space:  global
        .offset:         72
        .size:           8
        .value_kind:     global_buffer
      - .actual_access:  read_only
        .address_space:  global
        .offset:         80
        .size:           8
        .value_kind:     global_buffer
      - .actual_access:  read_only
        .address_space:  global
        .offset:         88
        .size:           8
        .value_kind:     global_buffer
      - .actual_access:  write_only
        .address_space:  global
        .offset:         96
        .size:           8
        .value_kind:     global_buffer
    .group_segment_fixed_size: 0
    .kernarg_segment_align: 8
    .kernarg_segment_size: 104
    .language:       OpenCL C
    .language_version:
      - 2
      - 0
    .max_flat_workgroup_size: 56
    .name:           fft_rtc_back_len672_factors_2_2_2_2_2_3_7_wgs_56_tpt_56_halfLds_half_op_CI_CI_unitstride_sbrr_dirReg
    .private_segment_fixed_size: 0
    .sgpr_count:     32
    .sgpr_spill_count: 0
    .symbol:         fft_rtc_back_len672_factors_2_2_2_2_2_3_7_wgs_56_tpt_56_halfLds_half_op_CI_CI_unitstride_sbrr_dirReg.kd
    .uniform_work_group_size: 1
    .uses_dynamic_stack: false
    .vgpr_count:     52
    .vgpr_spill_count: 0
    .wavefront_size: 64
amdhsa.target:   amdgcn-amd-amdhsa--gfx906
amdhsa.version:
  - 1
  - 2
...

	.end_amdgpu_metadata
